;; amdgpu-corpus repo=ROCm/rocFFT kind=compiled arch=gfx1201 opt=O3
	.text
	.amdgcn_target "amdgcn-amd-amdhsa--gfx1201"
	.amdhsa_code_object_version 6
	.protected	fft_rtc_back_len144_factors_6_6_4_wgs_120_tpt_12_halfLds_half_ip_CI_unitstride_sbrr_R2C_dirReg ; -- Begin function fft_rtc_back_len144_factors_6_6_4_wgs_120_tpt_12_halfLds_half_ip_CI_unitstride_sbrr_R2C_dirReg
	.globl	fft_rtc_back_len144_factors_6_6_4_wgs_120_tpt_12_halfLds_half_ip_CI_unitstride_sbrr_R2C_dirReg
	.p2align	8
	.type	fft_rtc_back_len144_factors_6_6_4_wgs_120_tpt_12_halfLds_half_ip_CI_unitstride_sbrr_R2C_dirReg,@function
fft_rtc_back_len144_factors_6_6_4_wgs_120_tpt_12_halfLds_half_ip_CI_unitstride_sbrr_R2C_dirReg: ; @fft_rtc_back_len144_factors_6_6_4_wgs_120_tpt_12_halfLds_half_ip_CI_unitstride_sbrr_R2C_dirReg
; %bb.0:
	s_load_b128 s[4:7], s[0:1], 0x0
	v_mul_u32_u24_e32 v1, 0x1556, v0
	s_clause 0x1
	s_load_b64 s[8:9], s[0:1], 0x50
	s_load_b64 s[10:11], s[0:1], 0x18
	v_mov_b32_e32 v5, 0
	v_lshrrev_b32_e32 v1, 16, v1
	s_delay_alu instid0(VALU_DEP_1) | instskip(SKIP_3) | instid1(VALU_DEP_1)
	v_mad_co_u64_u32 v[1:2], null, ttmp9, 10, v[1:2]
	v_mov_b32_e32 v3, 0
	v_mov_b32_e32 v4, 0
	;; [unrolled: 1-line block ×4, first 2 shown]
	s_wait_kmcnt 0x0
	v_cmp_lt_u64_e64 s2, s[6:7], 2
	v_mov_b32_e32 v9, v1
	s_delay_alu instid0(VALU_DEP_2)
	s_and_b32 vcc_lo, exec_lo, s2
	s_cbranch_vccnz .LBB0_8
; %bb.1:
	s_load_b64 s[2:3], s[0:1], 0x10
	v_dual_mov_b32 v3, 0 :: v_dual_mov_b32 v8, v2
	v_dual_mov_b32 v4, 0 :: v_dual_mov_b32 v7, v1
	s_add_nc_u64 s[12:13], s[10:11], 8
	s_mov_b64 s[14:15], 1
	s_wait_kmcnt 0x0
	s_add_nc_u64 s[16:17], s[2:3], 8
	s_mov_b32 s3, 0
.LBB0_2:                                ; =>This Inner Loop Header: Depth=1
	s_load_b64 s[18:19], s[16:17], 0x0
                                        ; implicit-def: $vgpr9_vgpr10
	s_mov_b32 s2, exec_lo
	s_wait_kmcnt 0x0
	v_or_b32_e32 v6, s19, v8
	s_delay_alu instid0(VALU_DEP_1)
	v_cmpx_ne_u64_e32 0, v[5:6]
	s_wait_alu 0xfffe
	s_xor_b32 s20, exec_lo, s2
	s_cbranch_execz .LBB0_4
; %bb.3:                                ;   in Loop: Header=BB0_2 Depth=1
	s_cvt_f32_u32 s2, s18
	s_cvt_f32_u32 s21, s19
	s_sub_nc_u64 s[24:25], 0, s[18:19]
	s_wait_alu 0xfffe
	s_delay_alu instid0(SALU_CYCLE_1) | instskip(SKIP_1) | instid1(SALU_CYCLE_2)
	s_fmamk_f32 s2, s21, 0x4f800000, s2
	s_wait_alu 0xfffe
	v_s_rcp_f32 s2, s2
	s_delay_alu instid0(TRANS32_DEP_1) | instskip(SKIP_1) | instid1(SALU_CYCLE_2)
	s_mul_f32 s2, s2, 0x5f7ffffc
	s_wait_alu 0xfffe
	s_mul_f32 s21, s2, 0x2f800000
	s_wait_alu 0xfffe
	s_delay_alu instid0(SALU_CYCLE_2) | instskip(SKIP_1) | instid1(SALU_CYCLE_2)
	s_trunc_f32 s21, s21
	s_wait_alu 0xfffe
	s_fmamk_f32 s2, s21, 0xcf800000, s2
	s_cvt_u32_f32 s23, s21
	s_wait_alu 0xfffe
	s_delay_alu instid0(SALU_CYCLE_1) | instskip(SKIP_1) | instid1(SALU_CYCLE_2)
	s_cvt_u32_f32 s22, s2
	s_wait_alu 0xfffe
	s_mul_u64 s[26:27], s[24:25], s[22:23]
	s_wait_alu 0xfffe
	s_mul_hi_u32 s29, s22, s27
	s_mul_i32 s28, s22, s27
	s_mul_hi_u32 s2, s22, s26
	s_mul_i32 s30, s23, s26
	s_wait_alu 0xfffe
	s_add_nc_u64 s[28:29], s[2:3], s[28:29]
	s_mul_hi_u32 s21, s23, s26
	s_mul_hi_u32 s31, s23, s27
	s_add_co_u32 s2, s28, s30
	s_wait_alu 0xfffe
	s_add_co_ci_u32 s2, s29, s21
	s_mul_i32 s26, s23, s27
	s_add_co_ci_u32 s27, s31, 0
	s_wait_alu 0xfffe
	s_add_nc_u64 s[26:27], s[2:3], s[26:27]
	s_wait_alu 0xfffe
	v_add_co_u32 v2, s2, s22, s26
	s_delay_alu instid0(VALU_DEP_1) | instskip(SKIP_1) | instid1(VALU_DEP_1)
	s_cmp_lg_u32 s2, 0
	s_add_co_ci_u32 s23, s23, s27
	v_readfirstlane_b32 s22, v2
	s_wait_alu 0xfffe
	s_delay_alu instid0(VALU_DEP_1)
	s_mul_u64 s[24:25], s[24:25], s[22:23]
	s_wait_alu 0xfffe
	s_mul_hi_u32 s27, s22, s25
	s_mul_i32 s26, s22, s25
	s_mul_hi_u32 s2, s22, s24
	s_mul_i32 s28, s23, s24
	s_wait_alu 0xfffe
	s_add_nc_u64 s[26:27], s[2:3], s[26:27]
	s_mul_hi_u32 s21, s23, s24
	s_mul_hi_u32 s22, s23, s25
	s_wait_alu 0xfffe
	s_add_co_u32 s2, s26, s28
	s_add_co_ci_u32 s2, s27, s21
	s_mul_i32 s24, s23, s25
	s_add_co_ci_u32 s25, s22, 0
	s_wait_alu 0xfffe
	s_add_nc_u64 s[24:25], s[2:3], s[24:25]
	s_wait_alu 0xfffe
	v_add_co_u32 v2, s2, v2, s24
	s_delay_alu instid0(VALU_DEP_1) | instskip(SKIP_1) | instid1(VALU_DEP_1)
	s_cmp_lg_u32 s2, 0
	s_add_co_ci_u32 s2, s23, s25
	v_mul_hi_u32 v6, v7, v2
	s_wait_alu 0xfffe
	v_mad_co_u64_u32 v[9:10], null, v7, s2, 0
	v_mad_co_u64_u32 v[11:12], null, v8, v2, 0
	;; [unrolled: 1-line block ×3, first 2 shown]
	s_delay_alu instid0(VALU_DEP_3) | instskip(SKIP_1) | instid1(VALU_DEP_4)
	v_add_co_u32 v2, vcc_lo, v6, v9
	s_wait_alu 0xfffd
	v_add_co_ci_u32_e32 v6, vcc_lo, 0, v10, vcc_lo
	s_delay_alu instid0(VALU_DEP_2) | instskip(SKIP_1) | instid1(VALU_DEP_2)
	v_add_co_u32 v2, vcc_lo, v2, v11
	s_wait_alu 0xfffd
	v_add_co_ci_u32_e32 v2, vcc_lo, v6, v12, vcc_lo
	s_wait_alu 0xfffd
	v_add_co_ci_u32_e32 v6, vcc_lo, 0, v14, vcc_lo
	s_delay_alu instid0(VALU_DEP_2) | instskip(SKIP_1) | instid1(VALU_DEP_2)
	v_add_co_u32 v2, vcc_lo, v2, v13
	s_wait_alu 0xfffd
	v_add_co_ci_u32_e32 v6, vcc_lo, 0, v6, vcc_lo
	s_delay_alu instid0(VALU_DEP_2) | instskip(SKIP_1) | instid1(VALU_DEP_3)
	v_mul_lo_u32 v11, s19, v2
	v_mad_co_u64_u32 v[9:10], null, s18, v2, 0
	v_mul_lo_u32 v12, s18, v6
	s_delay_alu instid0(VALU_DEP_2) | instskip(NEXT) | instid1(VALU_DEP_2)
	v_sub_co_u32 v9, vcc_lo, v7, v9
	v_add3_u32 v10, v10, v12, v11
	s_delay_alu instid0(VALU_DEP_1) | instskip(SKIP_1) | instid1(VALU_DEP_1)
	v_sub_nc_u32_e32 v11, v8, v10
	s_wait_alu 0xfffd
	v_subrev_co_ci_u32_e64 v11, s2, s19, v11, vcc_lo
	v_add_co_u32 v12, s2, v2, 2
	s_wait_alu 0xf1ff
	v_add_co_ci_u32_e64 v13, s2, 0, v6, s2
	v_sub_co_u32 v14, s2, v9, s18
	v_sub_co_ci_u32_e32 v10, vcc_lo, v8, v10, vcc_lo
	s_wait_alu 0xf1ff
	v_subrev_co_ci_u32_e64 v11, s2, 0, v11, s2
	s_delay_alu instid0(VALU_DEP_3) | instskip(NEXT) | instid1(VALU_DEP_3)
	v_cmp_le_u32_e32 vcc_lo, s18, v14
	v_cmp_eq_u32_e64 s2, s19, v10
	s_wait_alu 0xfffd
	v_cndmask_b32_e64 v14, 0, -1, vcc_lo
	v_cmp_le_u32_e32 vcc_lo, s19, v11
	s_wait_alu 0xfffd
	v_cndmask_b32_e64 v15, 0, -1, vcc_lo
	v_cmp_le_u32_e32 vcc_lo, s18, v9
	;; [unrolled: 3-line block ×3, first 2 shown]
	s_wait_alu 0xfffd
	v_cndmask_b32_e64 v16, 0, -1, vcc_lo
	v_cmp_eq_u32_e32 vcc_lo, s19, v11
	s_wait_alu 0xf1ff
	s_delay_alu instid0(VALU_DEP_2)
	v_cndmask_b32_e64 v9, v16, v9, s2
	s_wait_alu 0xfffd
	v_cndmask_b32_e32 v11, v15, v14, vcc_lo
	v_add_co_u32 v14, vcc_lo, v2, 1
	s_wait_alu 0xfffd
	v_add_co_ci_u32_e32 v15, vcc_lo, 0, v6, vcc_lo
	s_delay_alu instid0(VALU_DEP_3) | instskip(SKIP_1) | instid1(VALU_DEP_2)
	v_cmp_ne_u32_e32 vcc_lo, 0, v11
	s_wait_alu 0xfffd
	v_dual_cndmask_b32 v10, v15, v13 :: v_dual_cndmask_b32 v11, v14, v12
	v_cmp_ne_u32_e32 vcc_lo, 0, v9
	s_wait_alu 0xfffd
	s_delay_alu instid0(VALU_DEP_2) | instskip(NEXT) | instid1(VALU_DEP_3)
	v_cndmask_b32_e32 v10, v6, v10, vcc_lo
	v_cndmask_b32_e32 v9, v2, v11, vcc_lo
.LBB0_4:                                ;   in Loop: Header=BB0_2 Depth=1
	s_wait_alu 0xfffe
	s_and_not1_saveexec_b32 s2, s20
	s_cbranch_execz .LBB0_6
; %bb.5:                                ;   in Loop: Header=BB0_2 Depth=1
	v_cvt_f32_u32_e32 v2, s18
	s_sub_co_i32 s20, 0, s18
	s_delay_alu instid0(VALU_DEP_1) | instskip(NEXT) | instid1(TRANS32_DEP_1)
	v_rcp_iflag_f32_e32 v2, v2
	v_mul_f32_e32 v2, 0x4f7ffffe, v2
	s_delay_alu instid0(VALU_DEP_1) | instskip(SKIP_1) | instid1(VALU_DEP_1)
	v_cvt_u32_f32_e32 v2, v2
	s_wait_alu 0xfffe
	v_mul_lo_u32 v6, s20, v2
	s_delay_alu instid0(VALU_DEP_1) | instskip(NEXT) | instid1(VALU_DEP_1)
	v_mul_hi_u32 v6, v2, v6
	v_add_nc_u32_e32 v2, v2, v6
	s_delay_alu instid0(VALU_DEP_1) | instskip(NEXT) | instid1(VALU_DEP_1)
	v_mul_hi_u32 v2, v7, v2
	v_mul_lo_u32 v6, v2, s18
	v_add_nc_u32_e32 v9, 1, v2
	s_delay_alu instid0(VALU_DEP_2) | instskip(NEXT) | instid1(VALU_DEP_1)
	v_sub_nc_u32_e32 v6, v7, v6
	v_subrev_nc_u32_e32 v10, s18, v6
	v_cmp_le_u32_e32 vcc_lo, s18, v6
	s_wait_alu 0xfffd
	s_delay_alu instid0(VALU_DEP_2) | instskip(SKIP_2) | instid1(VALU_DEP_3)
	v_cndmask_b32_e32 v6, v6, v10, vcc_lo
	v_mov_b32_e32 v10, v5
	v_cndmask_b32_e32 v2, v2, v9, vcc_lo
	v_cmp_le_u32_e32 vcc_lo, s18, v6
	s_delay_alu instid0(VALU_DEP_2) | instskip(SKIP_1) | instid1(VALU_DEP_1)
	v_add_nc_u32_e32 v9, 1, v2
	s_wait_alu 0xfffd
	v_cndmask_b32_e32 v9, v2, v9, vcc_lo
.LBB0_6:                                ;   in Loop: Header=BB0_2 Depth=1
	s_wait_alu 0xfffe
	s_or_b32 exec_lo, exec_lo, s2
	s_load_b64 s[20:21], s[12:13], 0x0
	v_mul_lo_u32 v2, v10, s18
	v_mul_lo_u32 v6, v9, s19
	v_mad_co_u64_u32 v[11:12], null, v9, s18, 0
	s_add_nc_u64 s[14:15], s[14:15], 1
	s_add_nc_u64 s[12:13], s[12:13], 8
	s_wait_alu 0xfffe
	v_cmp_ge_u64_e64 s2, s[14:15], s[6:7]
	s_add_nc_u64 s[16:17], s[16:17], 8
	s_delay_alu instid0(VALU_DEP_2) | instskip(NEXT) | instid1(VALU_DEP_3)
	v_add3_u32 v2, v12, v6, v2
	v_sub_co_u32 v6, vcc_lo, v7, v11
	s_wait_alu 0xfffd
	s_delay_alu instid0(VALU_DEP_2) | instskip(SKIP_3) | instid1(VALU_DEP_2)
	v_sub_co_ci_u32_e32 v2, vcc_lo, v8, v2, vcc_lo
	s_and_b32 vcc_lo, exec_lo, s2
	s_wait_kmcnt 0x0
	v_mul_lo_u32 v7, s21, v6
	v_mul_lo_u32 v2, s20, v2
	v_mad_co_u64_u32 v[3:4], null, s20, v6, v[3:4]
	s_delay_alu instid0(VALU_DEP_1)
	v_add3_u32 v4, v7, v4, v2
	s_wait_alu 0xfffe
	s_cbranch_vccnz .LBB0_8
; %bb.7:                                ;   in Loop: Header=BB0_2 Depth=1
	v_dual_mov_b32 v7, v9 :: v_dual_mov_b32 v8, v10
	s_branch .LBB0_2
.LBB0_8:
	s_lshl_b64 s[2:3], s[6:7], 3
	v_mul_hi_u32 v2, 0xcccccccd, v1
	s_wait_alu 0xfffe
	s_add_nc_u64 s[2:3], s[10:11], s[2:3]
	v_mul_hi_u32 v5, 0x15555556, v0
	s_load_b64 s[2:3], s[2:3], 0x0
	s_load_b64 s[0:1], s[0:1], 0x20
	s_delay_alu instid0(VALU_DEP_2) | instskip(NEXT) | instid1(VALU_DEP_2)
	v_lshrrev_b32_e32 v2, 3, v2
	v_mul_u32_u24_e32 v5, 12, v5
	s_delay_alu instid0(VALU_DEP_2) | instskip(NEXT) | instid1(VALU_DEP_2)
	v_mul_lo_u32 v6, v2, 10
	v_sub_nc_u32_e32 v0, v0, v5
	s_delay_alu instid0(VALU_DEP_2) | instskip(NEXT) | instid1(VALU_DEP_2)
	v_sub_nc_u32_e32 v1, v1, v6
	v_add_nc_u32_e32 v6, 24, v0
	s_wait_kmcnt 0x0
	v_mul_lo_u32 v5, s2, v10
	v_mul_lo_u32 v7, s3, v9
	v_mad_co_u64_u32 v[2:3], null, s2, v9, v[3:4]
	v_cmp_gt_u64_e32 vcc_lo, s[0:1], v[9:10]
	v_cmp_le_u64_e64 s0, s[0:1], v[9:10]
	v_add_nc_u32_e32 v4, 12, v0
	s_delay_alu instid0(VALU_DEP_4) | instskip(NEXT) | instid1(VALU_DEP_3)
	v_add3_u32 v3, v7, v3, v5
	s_and_saveexec_b32 s1, s0
	s_wait_alu 0xfffe
	s_xor_b32 s0, exec_lo, s1
; %bb.9:
	v_add_nc_u32_e32 v4, 12, v0
	v_add_nc_u32_e32 v6, 24, v0
; %bb.10:
	s_wait_alu 0xfffe
	s_or_saveexec_b32 s1, s0
	v_mul_u32_u24_e32 v1, 0x91, v1
	v_lshlrev_b64_e32 v[2:3], 2, v[2:3]
	v_lshlrev_b32_e32 v5, 2, v0
	s_delay_alu instid0(VALU_DEP_3)
	v_lshlrev_b32_e32 v9, 2, v1
	s_wait_alu 0xfffe
	s_xor_b32 exec_lo, exec_lo, s1
	s_cbranch_execz .LBB0_12
; %bb.11:
	v_mov_b32_e32 v1, 0
	s_delay_alu instid0(VALU_DEP_1) | instskip(SKIP_3) | instid1(VALU_DEP_2)
	v_lshlrev_b64_e32 v[7:8], 2, v[0:1]
	v_add_co_u32 v1, s0, s8, v2
	s_wait_alu 0xf1ff
	v_add_co_ci_u32_e64 v10, s0, s9, v3, s0
	v_add_co_u32 v7, s0, v1, v7
	s_wait_alu 0xf1ff
	s_delay_alu instid0(VALU_DEP_2)
	v_add_co_ci_u32_e64 v8, s0, v10, v8, s0
	s_clause 0xb
	global_load_b32 v1, v[7:8], off
	global_load_b32 v10, v[7:8], off offset:48
	global_load_b32 v11, v[7:8], off offset:96
	;; [unrolled: 1-line block ×11, first 2 shown]
	v_add3_u32 v8, 0, v9, v5
	s_wait_loadcnt 0xa
	ds_store_2addr_b32 v8, v1, v10 offset1:12
	s_wait_loadcnt 0x8
	ds_store_2addr_b32 v8, v11, v12 offset0:24 offset1:36
	s_wait_loadcnt 0x6
	ds_store_2addr_b32 v8, v13, v14 offset0:48 offset1:60
	;; [unrolled: 2-line block ×5, first 2 shown]
.LBB0_12:
	s_or_b32 exec_lo, exec_lo, s1
	v_add3_u32 v1, 0, v5, v9
	global_wb scope:SCOPE_SE
	s_wait_dscnt 0x0
	s_barrier_signal -1
	s_barrier_wait -1
	global_inv scope:SCOPE_SE
	ds_load_2addr_b32 v[7:8], v1 offset0:36 offset1:48
	ds_load_2addr_b32 v[13:14], v1 offset0:60 offset1:72
	;; [unrolled: 1-line block ×5, first 2 shown]
	v_add_nc_u32_e32 v12, 0, v9
	ds_load_b32 v10, v1 offset:528
	v_mul_i32_i24_e32 v21, 6, v4
	v_mad_u32_u24 v23, v0, 20, v1
	v_cmp_gt_u32_e64 s0, 6, v0
	v_add_nc_u32_e32 v11, v12, v5
	s_mov_b32 s1, exec_lo
	v_lshl_add_u32 v24, v21, 2, v12
	ds_load_b32 v22, v11
	global_wb scope:SCOPE_SE
	s_wait_dscnt 0x0
	s_barrier_signal -1
	s_barrier_wait -1
	global_inv scope:SCOPE_SE
	v_mad_i32_i24 v37, 0xffffffec, v4, v24
	v_pk_add_f16 v26, v16, v14
	v_pk_add_f16 v25, v7, v17
	;; [unrolled: 1-line block ×3, first 2 shown]
	v_pk_add_f16 v14, v14, v20 neg_lo:[0,1] neg_hi:[0,1]
	v_pk_add_f16 v30, v17, v10
	v_pk_add_f16 v17, v17, v10 neg_lo:[0,1] neg_hi:[0,1]
	v_pk_add_f16 v10, v25, v10
	v_pk_fma_f16 v16, v27, 0.5, v16 op_sel_hi:[1,0,1] neg_lo:[1,0,0] neg_hi:[1,0,0]
	v_pk_add_f16 v28, v8, v18
	v_pk_add_f16 v29, v8, v18 neg_lo:[0,1] neg_hi:[0,1]
	v_pk_add_f16 v20, v26, v20
	v_pk_fma_f16 v7, v30, 0.5, v7 op_sel_hi:[1,0,1] neg_lo:[1,0,0] neg_hi:[1,0,0]
	v_pk_fma_f16 v25, 0x3aee, v14, v16 op_sel:[0,0,1] op_sel_hi:[0,1,0] neg_lo:[0,1,0] neg_hi:[0,1,0]
	v_pk_fma_f16 v14, 0x3aee, v14, v16 op_sel:[0,0,1] op_sel_hi:[0,1,0]
	v_pk_add_f16 v8, v22, v8
	v_pk_fma_f16 v22, v28, 0.5, v22 op_sel_hi:[1,0,1] neg_lo:[1,0,0] neg_hi:[1,0,0]
	v_pk_add_f16 v21, v15, v13
	v_pk_mul_f16 v16, 0x3aee, v25 op_sel_hi:[0,1]
	v_lshrrev_b32_e32 v26, 16, v14
	v_mul_f16_e32 v27, -0.5, v25
	v_pk_add_f16 v8, v8, v18
	v_pk_fma_f16 v18, 0x3aee, v29, v22 op_sel:[0,0,1] op_sel_hi:[0,1,0] neg_lo:[0,1,0] neg_hi:[0,1,0]
	v_pk_fma_f16 v28, 0xb8003800, v14, v16 op_sel:[0,0,1] op_sel_hi:[1,1,0]
	v_pk_fma_f16 v16, 0xb8003800, v14, v16 op_sel:[0,0,1] op_sel_hi:[1,1,0] neg_lo:[0,0,1] neg_hi:[0,0,1]
	v_lshrrev_b32_e32 v25, 16, v25
	v_mul_f16_e32 v14, 0xbaee, v14
	v_pk_fma_f16 v22, 0x3aee, v29, v22 op_sel:[0,0,1] op_sel_hi:[0,1,0]
	v_fmac_f16_e32 v27, 0x3aee, v26
	v_bfi_b32 v26, 0xffff, v28, v16
	v_lshrrev_b32_e32 v29, 16, v18
	v_fmac_f16_e32 v14, 0.5, v25
	v_pk_add_f16 v31, v8, v20
	v_add_f16_e32 v30, v18, v27
	v_pk_add_f16 v26, v22, v26
	v_pk_add_f16 v8, v8, v20 neg_lo:[0,1] neg_hi:[0,1]
	v_add_f16_e32 v29, v29, v14
	v_pack_b32_f16 v14, v14, v28
	v_pk_fma_f16 v20, 0x3aee, v17, v7 op_sel:[0,0,1] op_sel_hi:[0,1,0] neg_lo:[0,1,0] neg_hi:[0,1,0]
	v_alignbit_b32 v28, v30, v26, 16
	v_pk_add_f16 v30, v13, v19
	v_pk_fma_f16 v7, 0x3aee, v17, v7 op_sel:[0,0,1] op_sel_hi:[0,1,0]
	v_alignbit_b32 v32, v22, v18, 16
	v_pk_add_f16 v13, v13, v19 neg_lo:[0,1] neg_hi:[0,1]
	v_pk_mul_f16 v17, 0x3aee, v20 op_sel_hi:[0,1]
	v_pk_fma_f16 v15, v30, 0.5, v15 op_sel_hi:[1,0,1] neg_lo:[1,0,0] neg_hi:[1,0,0]
	v_alignbit_b32 v18, v18, v22, 16
	v_alignbit_b32 v16, v27, v16, 16
	v_lshrrev_b32_e32 v22, 16, v7
	v_mul_f16_e32 v27, -0.5, v20
	v_pk_add_f16 v21, v21, v19
	v_pack_b32_f16 v26, v29, v26
	v_pk_fma_f16 v19, 0x3aee, v13, v15 op_sel:[0,0,1] op_sel_hi:[0,1,0] neg_lo:[0,1,0] neg_hi:[0,1,0]
	v_pk_fma_f16 v13, 0x3aee, v13, v15 op_sel:[0,0,1] op_sel_hi:[0,1,0]
	v_pk_fma_f16 v15, 0xb8003800, v7, v17 op_sel:[0,0,1] op_sel_hi:[1,1,0]
	v_pk_fma_f16 v17, 0xb8003800, v7, v17 op_sel:[0,0,1] op_sel_hi:[1,1,0] neg_lo:[0,0,1] neg_hi:[0,0,1]
	v_lshrrev_b32_e32 v20, 16, v20
	v_mul_f16_e32 v7, 0xbaee, v7
	v_fmac_f16_e32 v27, 0x3aee, v22
	v_and_b32_e32 v22, 0xff, v4
	v_pk_add_f16 v14, v32, v14 neg_lo:[0,1] neg_hi:[0,1]
	v_pk_add_f16 v16, v18, v16 neg_lo:[0,1] neg_hi:[0,1]
	v_lshrrev_b32_e32 v18, 16, v19
	v_fmac_f16_e32 v7, 0.5, v20
	ds_store_2addr_b32 v23, v26, v28 offset0:1 offset1:2
	ds_store_2addr_b32 v23, v8, v14 offset0:3 offset1:4
	v_mul_lo_u16 v14, 0xab, v22
	v_bfi_b32 v29, 0xffff, v15, v17
	ds_store_2addr_b32 v23, v31, v16 offset1:5
	v_add_f16_e32 v8, v18, v7
	v_add_nc_u32_e32 v18, -6, v0
	v_lshrrev_b16 v22, 10, v14
	v_pk_add_f16 v20, v13, v29
	v_add_f16_e32 v29, v19, v27
	v_alignbit_b32 v14, v13, v19, 16
	s_wait_alu 0xf1ff
	v_cndmask_b32_e64 v23, v18, v0, s0
	v_mul_lo_u16 v18, v22, 6
	v_pack_b32_f16 v15, v7, v15
	v_alignbit_b32 v16, v29, v20, 16
	v_pack_b32_f16 v20, v8, v20
	v_mov_b32_e32 v8, 0
	v_alignbit_b32 v13, v19, v13, 16
	v_alignbit_b32 v17, v27, v17, 16
	v_mul_i32_i24_e32 v7, 5, v23
	v_sub_nc_u16 v18, v4, v18
	v_pk_add_f16 v15, v14, v15 neg_lo:[0,1] neg_hi:[0,1]
	v_pk_add_f16 v25, v21, v10
	v_pk_add_f16 v17, v13, v17 neg_lo:[0,1] neg_hi:[0,1]
	v_lshlrev_b64_e32 v[13:14], 2, v[7:8]
	v_and_b32_e32 v34, 0xff, v18
	v_pk_add_f16 v10, v21, v10 neg_lo:[0,1] neg_hi:[0,1]
	ds_store_2addr_b32 v24, v20, v16 offset0:1 offset1:2
	ds_store_2addr_b32 v24, v10, v15 offset0:3 offset1:4
	ds_store_2addr_b32 v24, v25, v17 offset1:5
	v_mul_u32_u24_e32 v7, 5, v34
	v_add_co_u32 v18, s0, s4, v13
	s_wait_alu 0xf1ff
	v_add_co_ci_u32_e64 v19, s0, s5, v14, s0
	s_delay_alu instid0(VALU_DEP_3)
	v_lshlrev_b32_e32 v7, 2, v7
	global_wb scope:SCOPE_SE
	s_wait_dscnt 0x0
	s_barrier_signal -1
	s_barrier_wait -1
	global_inv scope:SCOPE_SE
	s_clause 0x3
	global_load_b128 v[14:17], v[18:19], off
	global_load_b32 v10, v[18:19], off offset:16
	global_load_b128 v[18:21], v7, s[4:5]
	global_load_b32 v35, v7, s[4:5] offset:16
	v_cmp_lt_u32_e64 s0, 5, v0
	v_mul_u32_u24_e32 v25, 3, v0
	v_lshlrev_b32_e32 v23, 2, v23
	v_lshl_add_u32 v13, v6, 2, v12
	v_and_b32_e32 v32, 0xffff, v22
	s_wait_alu 0xf1ff
	v_cndmask_b32_e64 v7, 0, 0x90, s0
	v_lshlrev_b32_e32 v36, 2, v25
	s_delay_alu instid0(VALU_DEP_3) | instskip(NEXT) | instid1(VALU_DEP_3)
	v_mad_u32_u24 v43, 0x90, v32, 0
	v_add_nc_u32_e32 v26, 0, v7
	v_mul_i32_i24_e32 v7, 3, v4
	s_delay_alu instid0(VALU_DEP_2)
	v_add3_u32 v38, v26, v23, v9
	ds_load_b32 v39, v11
	ds_load_2addr_b32 v[24:25], v1 offset0:108 offset1:120
	ds_load_b32 v40, v37
	ds_load_2addr_b32 v[26:27], v1 offset0:36 offset1:48
	ds_load_2addr_b32 v[28:29], v1 offset0:60 offset1:72
	;; [unrolled: 1-line block ×3, first 2 shown]
	ds_load_b32 v41, v13
	ds_load_b32 v42, v1 offset:528
	v_lshlrev_b64_e32 v[22:23], 2, v[7:8]
	v_mul_i32_i24_e32 v7, 3, v6
	global_wb scope:SCOPE_SE
	s_wait_loadcnt_dscnt 0x0
	s_barrier_signal -1
	s_barrier_wait -1
	global_inv scope:SCOPE_SE
	v_lshlrev_b64_e32 v[32:33], 2, v[7:8]
	v_lshlrev_b32_e32 v7, 2, v34
	v_add_co_u32 v22, s0, s4, v22
	s_wait_alu 0xf1ff
	v_add_co_ci_u32_e64 v23, s0, s5, v23, s0
	s_delay_alu instid0(VALU_DEP_3)
	v_add3_u32 v7, v43, v7, v9
	v_lshrrev_b32_e32 v34, 16, v25
	v_lshrrev_b32_e32 v47, 16, v24
	;; [unrolled: 1-line block ×22, first 2 shown]
	v_mul_f16_e32 v63, v53, v49
	v_mul_f16_e32 v53, v53, v41
	;; [unrolled: 1-line block ×19, first 2 shown]
	v_fmac_f16_e32 v63, v14, v41
	v_fma_f16 v14, v14, v49, -v53
	v_fmac_f16_e32 v65, v16, v29
	v_fma_f16 v16, v16, v51, -v55
	;; [unrolled: 2-line block ×3, first 2 shown]
	v_mul_f16_e32 v56, v56, v31
	v_fmac_f16_e32 v64, v15, v27
	v_fmac_f16_e32 v66, v17, v31
	;; [unrolled: 1-line block ×3, first 2 shown]
	v_fma_f16 v18, v44, v18, -v58
	v_fmac_f16_e32 v70, v30, v20
	v_fma_f16 v20, v46, v20, -v60
	v_fmac_f16_e32 v71, v24, v21
	v_fma_f16 v24, v48, v35, -v62
	v_fma_f16 v15, v15, v50, -v54
	v_fmac_f16_e32 v69, v28, v19
	v_fma_f16 v19, v45, v19, -v59
	v_fma_f16 v21, v47, v21, -v61
	v_fmac_f16_e32 v72, v42, v35
	v_sub_f16_e32 v34, v16, v10
	v_add_f16_e32 v35, v14, v16
	v_add_f16_e32 v16, v16, v10
	v_fma_f16 v17, v17, v52, -v56
	v_add_f16_e32 v26, v64, v66
	v_add_f16_e32 v31, v65, v67
	v_sub_f16_e32 v50, v20, v24
	v_add_f16_e32 v51, v18, v20
	v_add_f16_e32 v20, v20, v24
	;; [unrolled: 1-line block ×3, first 2 shown]
	v_sub_f16_e32 v41, v65, v67
	v_add_f16_e32 v42, v40, v69
	v_sub_f16_e32 v45, v19, v21
	v_add_f16_e32 v46, v43, v19
	v_add_f16_e32 v19, v19, v21
	;; [unrolled: 1-line block ×3, first 2 shown]
	v_fmac_f16_e32 v14, -0.5, v16
	v_add_f16_e32 v25, v39, v64
	v_sub_f16_e32 v27, v15, v17
	v_add_f16_e32 v30, v63, v65
	v_add_f16_e32 v49, v70, v72
	v_sub_f16_e32 v52, v70, v72
	v_fmac_f16_e32 v39, -0.5, v26
	v_fmac_f16_e32 v63, -0.5, v31
	;; [unrolled: 1-line block ×3, first 2 shown]
	v_add_f16_e32 v15, v15, v17
	v_add_f16_e32 v17, v28, v17
	v_add_f16_e32 v16, v42, v71
	v_add_f16_e32 v21, v46, v21
	v_fmac_f16_e32 v43, -0.5, v19
	v_add_f16_e32 v19, v48, v72
	v_add_f16_e32 v24, v51, v24
	v_fmamk_f16 v28, v41, 0x3aee, v14
	v_fmac_f16_e32 v14, 0xbaee, v41
	v_add_f16_e32 v44, v69, v71
	v_fmac_f16_e32 v68, -0.5, v49
	v_fmamk_f16 v20, v27, 0xbaee, v39
	v_fmac_f16_e32 v39, 0x3aee, v27
	v_fmamk_f16 v27, v34, 0xbaee, v63
	v_fmac_f16_e32 v63, 0x3aee, v34
	;; [unrolled: 2-line block ×3, first 2 shown]
	v_sub_f16_e32 v29, v64, v66
	v_add_f16_e32 v25, v25, v66
	v_fmac_f16_e32 v9, -0.5, v15
	v_add_f16_e32 v15, v30, v67
	v_add_f16_e32 v10, v35, v10
	;; [unrolled: 1-line block ×4, first 2 shown]
	v_sub_f16_e32 v16, v16, v19
	v_sub_f16_e32 v19, v21, v24
	v_mul_f16_e32 v21, 0xbaee, v28
	v_mul_f16_e32 v28, 0.5, v28
	v_mul_f16_e32 v24, 0xbaee, v14
	v_mul_f16_e32 v14, -0.5, v14
	v_sub_f16_e32 v47, v69, v71
	v_fmac_f16_e32 v40, -0.5, v44
	v_fmamk_f16 v31, v50, 0xbaee, v68
	v_mul_f16_e32 v42, 0xbaee, v34
	v_mul_f16_e32 v34, 0.5, v34
	v_fmac_f16_e32 v68, 0x3aee, v50
	v_mul_f16_e32 v44, 0xbaee, v18
	v_mul_f16_e32 v18, -0.5, v18
	v_fmamk_f16 v26, v29, 0x3aee, v9
	v_fmac_f16_e32 v9, 0xbaee, v29
	v_add_f16_e32 v29, v25, v15
	v_add_f16_e32 v30, v17, v10
	v_fmac_f16_e32 v21, 0.5, v27
	v_fmac_f16_e32 v28, 0x3aee, v27
	v_fmac_f16_e32 v24, -0.5, v63
	v_fmac_f16_e32 v14, 0x3aee, v63
	v_sub_f16_e32 v15, v25, v15
	v_sub_f16_e32 v10, v17, v10
	v_fmamk_f16 v17, v45, 0xbaee, v40
	v_fmamk_f16 v25, v47, 0x3aee, v43
	v_fmac_f16_e32 v42, 0.5, v31
	v_fmac_f16_e32 v34, 0x3aee, v31
	v_fmac_f16_e32 v40, 0x3aee, v45
	v_fmac_f16_e32 v43, 0xbaee, v47
	v_fmac_f16_e32 v44, -0.5, v68
	v_fmac_f16_e32 v18, 0x3aee, v68
	v_pack_b32_f16 v29, v29, v30
	v_pack_b32_f16 v16, v16, v19
	v_add_f16_e32 v19, v20, v21
	v_add_f16_e32 v30, v26, v28
	;; [unrolled: 1-line block ×4, first 2 shown]
	v_sub_f16_e32 v20, v20, v21
	v_sub_f16_e32 v21, v39, v24
	;; [unrolled: 1-line block ×4, first 2 shown]
	v_add_f16_e32 v14, v17, v42
	v_add_f16_e32 v28, v25, v34
	v_pack_b32_f16 v10, v15, v10
	v_pack_b32_f16 v15, v35, v41
	v_add_f16_e32 v26, v40, v44
	v_add_f16_e32 v35, v43, v18
	v_sub_f16_e32 v17, v17, v42
	v_sub_f16_e32 v39, v40, v44
	;; [unrolled: 1-line block ×4, first 2 shown]
	v_pack_b32_f16 v19, v19, v30
	v_pack_b32_f16 v27, v27, v31
	;; [unrolled: 1-line block ×8, first 2 shown]
	ds_store_2addr_b32 v38, v29, v19 offset1:6
	ds_store_2addr_b32 v38, v27, v10 offset0:12 offset1:18
	ds_store_2addr_b32 v38, v20, v9 offset0:24 offset1:30
	ds_store_2addr_b32 v7, v15, v14 offset1:6
	ds_store_2addr_b32 v7, v21, v16 offset0:12 offset1:18
	ds_store_2addr_b32 v7, v17, v18 offset0:24 offset1:30
	v_add_co_u32 v9, s0, s4, v32
	s_wait_alu 0xf1ff
	v_add_co_ci_u32_e64 v10, s0, s5, v33, s0
	global_wb scope:SCOPE_SE
	s_wait_dscnt 0x0
	s_barrier_signal -1
	s_barrier_wait -1
	global_inv scope:SCOPE_SE
	s_clause 0x2
	global_load_b96 v[14:16], v36, s[4:5] offset:120
	global_load_b96 v[17:19], v[22:23], off offset:120
	global_load_b96 v[20:22], v[9:10], off offset:120
	ds_load_2addr_b32 v[9:10], v1 offset0:108 offset1:120
	ds_load_2addr_b32 v[23:24], v1 offset0:60 offset1:72
	;; [unrolled: 1-line block ×3, first 2 shown]
	ds_load_b32 v7, v1 offset:528
	ds_load_2addr_b32 v[27:28], v1 offset0:36 offset1:48
	ds_load_b32 v29, v11
	ds_load_b32 v30, v37
	;; [unrolled: 1-line block ×3, first 2 shown]
	global_wb scope:SCOPE_SE
	s_wait_loadcnt_dscnt 0x0
	s_barrier_signal -1
	s_barrier_wait -1
	global_inv scope:SCOPE_SE
	v_lshrrev_b32_e32 v39, 16, v9
	v_lshrrev_b32_e32 v38, 16, v24
	;; [unrolled: 1-line block ×21, first 2 shown]
	v_mul_f16_e32 v54, v45, v36
	v_mul_f16_e32 v45, v45, v27
	;; [unrolled: 1-line block ×18, first 2 shown]
	v_fmac_f16_e32 v54, v14, v27
	v_fma_f16 v14, v14, v36, -v45
	v_fmac_f16_e32 v55, v15, v24
	v_fma_f16 v15, v15, v38, -v46
	v_fmac_f16_e32 v56, v16, v9
	v_fma_f16 v9, v16, v39, -v47
	v_fmac_f16_e32 v57, v17, v28
	v_fma_f16 v16, v17, v40, -v48
	v_fmac_f16_e32 v58, v18, v25
	v_fma_f16 v17, v18, v41, -v49
	v_fmac_f16_e32 v59, v10, v19
	v_fma_f16 v10, v32, v19, -v50
	v_fmac_f16_e32 v60, v23, v20
	v_fma_f16 v18, v33, v20, -v51
	v_fmac_f16_e32 v61, v26, v21
	v_fma_f16 v19, v34, v21, -v52
	v_fmac_f16_e32 v62, v7, v22
	v_fma_f16 v7, v35, v22, -v53
	v_sub_f16_e32 v20, v29, v55
	v_sub_f16_e32 v15, v42, v15
	;; [unrolled: 1-line block ×12, first 2 shown]
	v_fma_f16 v26, v29, 2.0, -v20
	v_fma_f16 v27, v42, 2.0, -v15
	;; [unrolled: 1-line block ×12, first 2 shown]
	v_add_f16_e32 v9, v20, v9
	v_sub_f16_e32 v21, v15, v21
	v_add_f16_e32 v10, v22, v10
	v_sub_f16_e32 v23, v17, v23
	v_sub_f16_e32 v28, v26, v28
	;; [unrolled: 1-line block ×3, first 2 shown]
	v_add_f16_e32 v7, v24, v7
	v_sub_f16_e32 v25, v19, v25
	v_sub_f16_e32 v32, v29, v32
	;; [unrolled: 1-line block ×5, first 2 shown]
	v_fma_f16 v20, v20, 2.0, -v9
	v_fma_f16 v15, v15, 2.0, -v21
	;; [unrolled: 1-line block ×4, first 2 shown]
	v_pack_b32_f16 v9, v9, v21
	v_pack_b32_f16 v10, v10, v23
	v_fma_f16 v21, v26, 2.0, -v28
	v_fma_f16 v23, v27, 2.0, -v14
	;; [unrolled: 1-line block ×4, first 2 shown]
	v_pack_b32_f16 v7, v7, v25
	v_fma_f16 v25, v29, 2.0, -v32
	v_fma_f16 v26, v30, 2.0, -v16
	;; [unrolled: 1-line block ×4, first 2 shown]
	v_pack_b32_f16 v14, v28, v14
	v_pack_b32_f16 v15, v20, v15
	;; [unrolled: 1-line block ×9, first 2 shown]
	ds_store_2addr_b32 v1, v14, v9 offset0:72 offset1:108
	ds_store_2addr_b32 v1, v20, v15 offset1:36
	ds_store_2addr_b32 v37, v21, v17 offset1:36
	ds_store_2addr_b32 v37, v16, v10 offset0:72 offset1:108
	ds_store_2addr_b32 v13, v22, v19 offset1:36
	ds_store_2addr_b32 v13, v18, v7 offset0:72 offset1:108
	global_wb scope:SCOPE_SE
	s_wait_dscnt 0x0
	s_barrier_signal -1
	s_barrier_wait -1
	global_inv scope:SCOPE_SE
	ds_load_b32 v7, v11
	v_sub_nc_u32_e32 v14, v12, v5
                                        ; implicit-def: $vgpr16
                                        ; implicit-def: $vgpr15
                                        ; implicit-def: $vgpr17
                                        ; implicit-def: $vgpr9_vgpr10
	v_cmpx_ne_u32_e32 0, v0
	s_wait_alu 0xfffe
	s_xor_b32 s1, exec_lo, s1
	s_cbranch_execz .LBB0_14
; %bb.13:
	v_mov_b32_e32 v1, v8
	s_delay_alu instid0(VALU_DEP_1) | instskip(NEXT) | instid1(VALU_DEP_1)
	v_lshlrev_b64_e32 v[8:9], 2, v[0:1]
	v_add_co_u32 v8, s0, s4, v8
	s_wait_alu 0xf1ff
	s_delay_alu instid0(VALU_DEP_2)
	v_add_co_ci_u32_e64 v9, s0, s5, v9, s0
	global_load_b32 v5, v[8:9], off offset:552
	ds_load_b32 v8, v14 offset:576
	s_wait_dscnt 0x0
	v_pk_add_f16 v9, v7, v8 neg_lo:[0,1] neg_hi:[0,1]
	v_pk_add_f16 v7, v8, v7
	s_delay_alu instid0(VALU_DEP_1) | instskip(SKIP_1) | instid1(VALU_DEP_2)
	v_bfi_b32 v8, 0xffff, v9, v7
	v_bfi_b32 v7, 0xffff, v7, v9
	v_pk_mul_f16 v8, v8, 0.5 op_sel_hi:[1,0]
	s_delay_alu instid0(VALU_DEP_2) | instskip(SKIP_1) | instid1(VALU_DEP_2)
	v_pk_mul_f16 v10, v7, 0.5 op_sel_hi:[1,0]
	s_wait_loadcnt 0x0
	v_pk_mul_f16 v9, v5, v8 op_sel:[1,0]
	v_pk_mul_f16 v5, v5, v8 op_sel_hi:[0,1]
	s_delay_alu instid0(VALU_DEP_3) | instskip(NEXT) | instid1(VALU_DEP_3)
	v_lshrrev_b32_e32 v8, 16, v10
	v_pk_fma_f16 v7, v7, 0.5, v9 op_sel_hi:[1,0,1]
	v_lshrrev_b32_e32 v15, 16, v9
	v_sub_f16_e32 v9, v10, v9
	v_lshrrev_b32_e32 v10, 16, v5
	s_delay_alu instid0(VALU_DEP_4) | instskip(SKIP_2) | instid1(VALU_DEP_4)
	v_pk_add_f16 v16, v7, v5 op_sel:[0,1] op_sel_hi:[1,0]
	v_pk_add_f16 v7, v7, v5 op_sel:[0,1] op_sel_hi:[1,0] neg_lo:[0,1] neg_hi:[0,1]
	v_sub_f16_e32 v8, v15, v8
	v_sub_f16_e32 v15, v9, v10
	v_dual_mov_b32 v10, v1 :: v_dual_mov_b32 v9, v0
	s_delay_alu instid0(VALU_DEP_4) | instskip(NEXT) | instid1(VALU_DEP_4)
	v_bfi_b32 v16, 0xffff, v16, v7
	v_sub_f16_e32 v17, v8, v5
                                        ; implicit-def: $vgpr7
.LBB0_14:
	s_wait_alu 0xfffe
	s_and_not1_saveexec_b32 s0, s1
	s_cbranch_execz .LBB0_16
; %bb.15:
	ds_load_u16 v1, v12 offset:290
	s_wait_dscnt 0x1
	s_wait_alu 0xfffe
	v_alignbit_b32 v5, s0, v7, 16
	v_lshrrev_b32_e32 v8, 16, v7
	v_mov_b32_e32 v9, 0
	v_dual_mov_b32 v10, 0 :: v_dual_mov_b32 v17, 0
	s_delay_alu instid0(VALU_DEP_4) | instskip(NEXT) | instid1(VALU_DEP_4)
	v_pk_add_f16 v5, v5, v7
	v_sub_f16_e32 v15, v7, v8
	s_delay_alu instid0(VALU_DEP_2)
	v_pack_b32_f16 v16, v5, 0
	s_wait_dscnt 0x0
	v_xor_b32_e32 v1, 0x8000, v1
	ds_store_b16 v12, v1 offset:290
.LBB0_16:
	s_wait_alu 0xfffe
	s_or_b32 exec_lo, exec_lo, s0
	v_mov_b32_e32 v5, 0
	s_wait_dscnt 0x0
	s_delay_alu instid0(VALU_DEP_1) | instskip(SKIP_1) | instid1(VALU_DEP_2)
	v_lshlrev_b64_e32 v[7:8], 2, v[4:5]
	v_lshl_add_u32 v4, v4, 2, v12
	v_add_co_u32 v7, s0, s4, v7
	s_wait_alu 0xf1ff
	s_delay_alu instid0(VALU_DEP_3) | instskip(SKIP_2) | instid1(VALU_DEP_1)
	v_add_co_ci_u32_e64 v8, s0, s5, v8, s0
	global_load_b32 v1, v[7:8], off offset:552
	v_mov_b32_e32 v7, v5
	v_lshlrev_b64_e32 v[5:6], 2, v[6:7]
	s_delay_alu instid0(VALU_DEP_1) | instskip(SKIP_1) | instid1(VALU_DEP_2)
	v_add_co_u32 v5, s0, s4, v5
	s_wait_alu 0xf1ff
	v_add_co_ci_u32_e64 v6, s0, s5, v6, s0
	s_add_nc_u64 s[0:1], s[4:5], 0x228
	global_load_b32 v18, v[5:6], off offset:552
	v_lshlrev_b64_e32 v[5:6], 2, v[9:10]
	s_wait_alu 0xfffe
	s_delay_alu instid0(VALU_DEP_1) | instskip(SKIP_1) | instid1(VALU_DEP_2)
	v_add_co_u32 v7, s0, s0, v5
	s_wait_alu 0xf1ff
	v_add_co_ci_u32_e64 v8, s0, s1, v6, s0
	s_clause 0x2
	global_load_b32 v9, v[7:8], off offset:144
	global_load_b32 v10, v[7:8], off offset:192
	;; [unrolled: 1-line block ×3, first 2 shown]
	ds_store_b16 v14, v17 offset:578
	ds_store_b32 v11, v16
	ds_store_b16 v14, v15 offset:576
	ds_load_b32 v8, v4
	ds_load_b32 v12, v14 offset:528
	s_wait_dscnt 0x0
	v_pk_add_f16 v15, v8, v12 neg_lo:[0,1] neg_hi:[0,1]
	v_pk_add_f16 v8, v8, v12
	s_delay_alu instid0(VALU_DEP_1) | instskip(SKIP_1) | instid1(VALU_DEP_2)
	v_bfi_b32 v12, 0xffff, v15, v8
	v_bfi_b32 v8, 0xffff, v8, v15
	v_pk_mul_f16 v12, v12, 0.5 op_sel_hi:[1,0]
	s_delay_alu instid0(VALU_DEP_2) | instskip(SKIP_1) | instid1(VALU_DEP_1)
	v_pk_mul_f16 v8, v8, 0.5 op_sel_hi:[1,0]
	s_wait_loadcnt 0x4
	v_pk_fma_f16 v15, v1, v12, v8 op_sel:[1,0,0]
	v_pk_mul_f16 v16, v1, v12 op_sel_hi:[0,1]
	v_pk_fma_f16 v17, v1, v12, v8 op_sel:[1,0,0] neg_lo:[1,0,0] neg_hi:[1,0,0]
	v_pk_fma_f16 v1, v1, v12, v8 op_sel:[1,0,0] neg_lo:[0,0,1] neg_hi:[0,0,1]
	s_delay_alu instid0(VALU_DEP_3) | instskip(SKIP_1) | instid1(VALU_DEP_4)
	v_pk_add_f16 v8, v15, v16 op_sel:[0,1] op_sel_hi:[1,0]
	v_pk_add_f16 v12, v15, v16 op_sel:[0,1] op_sel_hi:[1,0] neg_lo:[0,1] neg_hi:[0,1]
	v_pk_add_f16 v15, v17, v16 op_sel:[0,1] op_sel_hi:[1,0] neg_lo:[0,1] neg_hi:[0,1]
	s_delay_alu instid0(VALU_DEP_4) | instskip(NEXT) | instid1(VALU_DEP_3)
	v_pk_add_f16 v1, v1, v16 op_sel:[0,1] op_sel_hi:[1,0] neg_lo:[0,1] neg_hi:[0,1]
	v_bfi_b32 v8, 0xffff, v8, v12
	s_delay_alu instid0(VALU_DEP_2)
	v_bfi_b32 v1, 0xffff, v15, v1
	ds_store_b32 v4, v8
	ds_store_b32 v14, v1 offset:528
	ds_load_b32 v1, v13
	ds_load_b32 v4, v14 offset:480
	s_wait_dscnt 0x0
	v_pk_add_f16 v8, v1, v4 neg_lo:[0,1] neg_hi:[0,1]
	v_pk_add_f16 v1, v1, v4
	s_delay_alu instid0(VALU_DEP_1) | instskip(SKIP_1) | instid1(VALU_DEP_2)
	v_bfi_b32 v4, 0xffff, v8, v1
	v_bfi_b32 v1, 0xffff, v1, v8
	v_pk_mul_f16 v4, v4, 0.5 op_sel_hi:[1,0]
	s_delay_alu instid0(VALU_DEP_2) | instskip(SKIP_1) | instid1(VALU_DEP_2)
	v_pk_mul_f16 v1, v1, 0.5 op_sel_hi:[1,0]
	s_wait_loadcnt 0x3
	v_pk_mul_f16 v12, v18, v4 op_sel_hi:[0,1]
	s_delay_alu instid0(VALU_DEP_2) | instskip(SKIP_2) | instid1(VALU_DEP_3)
	v_pk_fma_f16 v8, v18, v4, v1 op_sel:[1,0,0]
	v_pk_fma_f16 v15, v18, v4, v1 op_sel:[1,0,0] neg_lo:[1,0,0] neg_hi:[1,0,0]
	v_pk_fma_f16 v1, v18, v4, v1 op_sel:[1,0,0] neg_lo:[0,0,1] neg_hi:[0,0,1]
	v_pk_add_f16 v4, v8, v12 op_sel:[0,1] op_sel_hi:[1,0]
	v_pk_add_f16 v8, v8, v12 op_sel:[0,1] op_sel_hi:[1,0] neg_lo:[0,1] neg_hi:[0,1]
	s_delay_alu instid0(VALU_DEP_4) | instskip(NEXT) | instid1(VALU_DEP_4)
	v_pk_add_f16 v15, v15, v12 op_sel:[0,1] op_sel_hi:[1,0] neg_lo:[0,1] neg_hi:[0,1]
	v_pk_add_f16 v1, v1, v12 op_sel:[0,1] op_sel_hi:[1,0] neg_lo:[0,1] neg_hi:[0,1]
	s_delay_alu instid0(VALU_DEP_3) | instskip(NEXT) | instid1(VALU_DEP_2)
	v_bfi_b32 v4, 0xffff, v4, v8
	v_bfi_b32 v1, 0xffff, v15, v1
	ds_store_b32 v13, v4
	ds_store_b32 v14, v1 offset:480
	ds_load_b32 v1, v11 offset:144
	ds_load_b32 v4, v14 offset:432
	s_wait_dscnt 0x0
	v_pk_add_f16 v8, v1, v4 neg_lo:[0,1] neg_hi:[0,1]
	v_pk_add_f16 v1, v1, v4
	s_delay_alu instid0(VALU_DEP_1) | instskip(SKIP_1) | instid1(VALU_DEP_2)
	v_bfi_b32 v4, 0xffff, v8, v1
	v_bfi_b32 v1, 0xffff, v1, v8
	v_pk_mul_f16 v4, v4, 0.5 op_sel_hi:[1,0]
	s_delay_alu instid0(VALU_DEP_2) | instskip(SKIP_1) | instid1(VALU_DEP_2)
	v_pk_mul_f16 v8, v1, 0.5 op_sel_hi:[1,0]
	s_wait_loadcnt 0x2
	v_pk_mul_f16 v12, v9, v4 op_sel:[1,0]
	v_pk_mul_f16 v4, v9, v4 op_sel_hi:[0,1]
	s_delay_alu instid0(VALU_DEP_3) | instskip(NEXT) | instid1(VALU_DEP_3)
	v_lshrrev_b32_e32 v9, 16, v8
	v_lshrrev_b32_e32 v13, 16, v12
	v_pk_fma_f16 v1, v1, 0.5, v12 op_sel_hi:[1,0,1]
	v_sub_f16_e32 v8, v8, v12
	s_delay_alu instid0(VALU_DEP_3) | instskip(NEXT) | instid1(VALU_DEP_3)
	v_sub_f16_e32 v9, v13, v9
	v_pk_add_f16 v12, v1, v4 op_sel:[0,1] op_sel_hi:[1,0]
	v_pk_add_f16 v1, v1, v4 op_sel:[0,1] op_sel_hi:[1,0] neg_lo:[0,1] neg_hi:[0,1]
	v_lshrrev_b32_e32 v13, 16, v4
	s_delay_alu instid0(VALU_DEP_4) | instskip(NEXT) | instid1(VALU_DEP_3)
	v_sub_f16_e32 v4, v9, v4
	v_bfi_b32 v1, 0xffff, v12, v1
	s_delay_alu instid0(VALU_DEP_3)
	v_sub_f16_e32 v8, v8, v13
	ds_store_b16 v14, v4 offset:434
	ds_store_b32 v11, v1 offset:144
	ds_store_b16 v14, v8 offset:432
	ds_load_b32 v1, v11 offset:192
	ds_load_b32 v4, v14 offset:384
	s_wait_dscnt 0x0
	v_pk_add_f16 v8, v1, v4 neg_lo:[0,1] neg_hi:[0,1]
	v_pk_add_f16 v1, v1, v4
	s_delay_alu instid0(VALU_DEP_1) | instskip(SKIP_1) | instid1(VALU_DEP_2)
	v_bfi_b32 v4, 0xffff, v8, v1
	v_bfi_b32 v1, 0xffff, v1, v8
	v_pk_mul_f16 v4, v4, 0.5 op_sel_hi:[1,0]
	s_delay_alu instid0(VALU_DEP_2) | instskip(SKIP_1) | instid1(VALU_DEP_2)
	v_pk_mul_f16 v8, v1, 0.5 op_sel_hi:[1,0]
	s_wait_loadcnt 0x1
	v_pk_mul_f16 v9, v10, v4 op_sel:[1,0]
	v_pk_mul_f16 v4, v10, v4 op_sel_hi:[0,1]
	s_delay_alu instid0(VALU_DEP_3) | instskip(NEXT) | instid1(VALU_DEP_3)
	v_lshrrev_b32_e32 v10, 16, v8
	v_lshrrev_b32_e32 v12, 16, v9
	v_pk_fma_f16 v1, v1, 0.5, v9 op_sel_hi:[1,0,1]
	v_sub_f16_e32 v8, v8, v9
	s_delay_alu instid0(VALU_DEP_3) | instskip(NEXT) | instid1(VALU_DEP_3)
	v_sub_f16_e32 v10, v12, v10
	v_pk_add_f16 v9, v1, v4 op_sel:[0,1] op_sel_hi:[1,0]
	v_pk_add_f16 v1, v1, v4 op_sel:[0,1] op_sel_hi:[1,0] neg_lo:[0,1] neg_hi:[0,1]
	v_lshrrev_b32_e32 v12, 16, v4
	s_delay_alu instid0(VALU_DEP_4) | instskip(NEXT) | instid1(VALU_DEP_3)
	v_sub_f16_e32 v4, v10, v4
	v_bfi_b32 v1, 0xffff, v9, v1
	s_delay_alu instid0(VALU_DEP_3)
	v_sub_f16_e32 v8, v8, v12
	ds_store_b16 v14, v4 offset:386
	ds_store_b32 v11, v1 offset:192
	ds_store_b16 v14, v8 offset:384
	ds_load_b32 v1, v11 offset:240
	ds_load_b32 v4, v14 offset:336
	s_wait_dscnt 0x0
	v_pk_add_f16 v8, v1, v4 neg_lo:[0,1] neg_hi:[0,1]
	v_pk_add_f16 v1, v1, v4
	s_delay_alu instid0(VALU_DEP_1) | instskip(SKIP_1) | instid1(VALU_DEP_2)
	v_bfi_b32 v4, 0xffff, v8, v1
	v_bfi_b32 v1, 0xffff, v1, v8
	v_pk_mul_f16 v4, v4, 0.5 op_sel_hi:[1,0]
	s_delay_alu instid0(VALU_DEP_2) | instskip(SKIP_1) | instid1(VALU_DEP_2)
	v_pk_mul_f16 v1, v1, 0.5 op_sel_hi:[1,0]
	s_wait_loadcnt 0x0
	v_pk_mul_f16 v9, v7, v4 op_sel_hi:[0,1]
	s_delay_alu instid0(VALU_DEP_2) | instskip(SKIP_2) | instid1(VALU_DEP_3)
	v_pk_fma_f16 v8, v7, v4, v1 op_sel:[1,0,0]
	v_pk_fma_f16 v10, v7, v4, v1 op_sel:[1,0,0] neg_lo:[1,0,0] neg_hi:[1,0,0]
	v_pk_fma_f16 v1, v7, v4, v1 op_sel:[1,0,0] neg_lo:[0,0,1] neg_hi:[0,0,1]
	v_pk_add_f16 v4, v8, v9 op_sel:[0,1] op_sel_hi:[1,0]
	v_pk_add_f16 v7, v8, v9 op_sel:[0,1] op_sel_hi:[1,0] neg_lo:[0,1] neg_hi:[0,1]
	s_delay_alu instid0(VALU_DEP_4) | instskip(NEXT) | instid1(VALU_DEP_4)
	v_pk_add_f16 v8, v10, v9 op_sel:[0,1] op_sel_hi:[1,0] neg_lo:[0,1] neg_hi:[0,1]
	v_pk_add_f16 v1, v1, v9 op_sel:[0,1] op_sel_hi:[1,0] neg_lo:[0,1] neg_hi:[0,1]
	s_delay_alu instid0(VALU_DEP_3) | instskip(NEXT) | instid1(VALU_DEP_2)
	v_bfi_b32 v4, 0xffff, v4, v7
	v_bfi_b32 v1, 0xffff, v8, v1
	ds_store_b32 v11, v4 offset:240
	ds_store_b32 v14, v1 offset:336
	global_wb scope:SCOPE_SE
	s_wait_dscnt 0x0
	s_barrier_signal -1
	s_barrier_wait -1
	global_inv scope:SCOPE_SE
	s_and_saveexec_b32 s0, vcc_lo
	s_cbranch_execz .LBB0_19
; %bb.17:
	ds_load_2addr_b32 v[7:8], v11 offset1:12
	ds_load_2addr_b32 v[9:10], v11 offset0:24 offset1:36
	ds_load_2addr_b32 v[12:13], v11 offset0:48 offset1:60
	;; [unrolled: 1-line block ×4, first 2 shown]
	v_add_co_u32 v1, vcc_lo, s8, v2
	s_wait_alu 0xfffd
	v_add_co_ci_u32_e32 v2, vcc_lo, s9, v3, vcc_lo
	ds_load_2addr_b32 v[3:4], v11 offset0:120 offset1:132
	v_add_co_u32 v5, vcc_lo, v1, v5
	s_wait_alu 0xfffd
	v_add_co_ci_u32_e32 v6, vcc_lo, v2, v6, vcc_lo
	v_cmp_eq_u32_e32 vcc_lo, 11, v0
	s_wait_dscnt 0x5
	s_clause 0x1
	global_store_b32 v[5:6], v7, off
	global_store_b32 v[5:6], v8, off offset:48
	s_wait_dscnt 0x4
	s_clause 0x1
	global_store_b32 v[5:6], v9, off offset:96
	global_store_b32 v[5:6], v10, off offset:144
	s_wait_dscnt 0x3
	s_clause 0x1
	global_store_b32 v[5:6], v12, off offset:192
	;; [unrolled: 4-line block ×5, first 2 shown]
	global_store_b32 v[5:6], v4, off offset:528
	s_and_b32 exec_lo, exec_lo, vcc_lo
	s_cbranch_execz .LBB0_19
; %bb.18:
	ds_load_b32 v0, v11 offset:532
	s_wait_dscnt 0x0
	global_store_b32 v[1:2], v0, off offset:576
.LBB0_19:
	s_nop 0
	s_sendmsg sendmsg(MSG_DEALLOC_VGPRS)
	s_endpgm
	.section	.rodata,"a",@progbits
	.p2align	6, 0x0
	.amdhsa_kernel fft_rtc_back_len144_factors_6_6_4_wgs_120_tpt_12_halfLds_half_ip_CI_unitstride_sbrr_R2C_dirReg
		.amdhsa_group_segment_fixed_size 0
		.amdhsa_private_segment_fixed_size 0
		.amdhsa_kernarg_size 88
		.amdhsa_user_sgpr_count 2
		.amdhsa_user_sgpr_dispatch_ptr 0
		.amdhsa_user_sgpr_queue_ptr 0
		.amdhsa_user_sgpr_kernarg_segment_ptr 1
		.amdhsa_user_sgpr_dispatch_id 0
		.amdhsa_user_sgpr_private_segment_size 0
		.amdhsa_wavefront_size32 1
		.amdhsa_uses_dynamic_stack 0
		.amdhsa_enable_private_segment 0
		.amdhsa_system_sgpr_workgroup_id_x 1
		.amdhsa_system_sgpr_workgroup_id_y 0
		.amdhsa_system_sgpr_workgroup_id_z 0
		.amdhsa_system_sgpr_workgroup_info 0
		.amdhsa_system_vgpr_workitem_id 0
		.amdhsa_next_free_vgpr 73
		.amdhsa_next_free_sgpr 32
		.amdhsa_reserve_vcc 1
		.amdhsa_float_round_mode_32 0
		.amdhsa_float_round_mode_16_64 0
		.amdhsa_float_denorm_mode_32 3
		.amdhsa_float_denorm_mode_16_64 3
		.amdhsa_fp16_overflow 0
		.amdhsa_workgroup_processor_mode 1
		.amdhsa_memory_ordered 1
		.amdhsa_forward_progress 0
		.amdhsa_round_robin_scheduling 0
		.amdhsa_exception_fp_ieee_invalid_op 0
		.amdhsa_exception_fp_denorm_src 0
		.amdhsa_exception_fp_ieee_div_zero 0
		.amdhsa_exception_fp_ieee_overflow 0
		.amdhsa_exception_fp_ieee_underflow 0
		.amdhsa_exception_fp_ieee_inexact 0
		.amdhsa_exception_int_div_zero 0
	.end_amdhsa_kernel
	.text
.Lfunc_end0:
	.size	fft_rtc_back_len144_factors_6_6_4_wgs_120_tpt_12_halfLds_half_ip_CI_unitstride_sbrr_R2C_dirReg, .Lfunc_end0-fft_rtc_back_len144_factors_6_6_4_wgs_120_tpt_12_halfLds_half_ip_CI_unitstride_sbrr_R2C_dirReg
                                        ; -- End function
	.section	.AMDGPU.csdata,"",@progbits
; Kernel info:
; codeLenInByte = 6768
; NumSgprs: 34
; NumVgprs: 73
; ScratchSize: 0
; MemoryBound: 0
; FloatMode: 240
; IeeeMode: 1
; LDSByteSize: 0 bytes/workgroup (compile time only)
; SGPRBlocks: 4
; VGPRBlocks: 9
; NumSGPRsForWavesPerEU: 34
; NumVGPRsForWavesPerEU: 73
; Occupancy: 16
; WaveLimiterHint : 1
; COMPUTE_PGM_RSRC2:SCRATCH_EN: 0
; COMPUTE_PGM_RSRC2:USER_SGPR: 2
; COMPUTE_PGM_RSRC2:TRAP_HANDLER: 0
; COMPUTE_PGM_RSRC2:TGID_X_EN: 1
; COMPUTE_PGM_RSRC2:TGID_Y_EN: 0
; COMPUTE_PGM_RSRC2:TGID_Z_EN: 0
; COMPUTE_PGM_RSRC2:TIDIG_COMP_CNT: 0
	.text
	.p2alignl 7, 3214868480
	.fill 96, 4, 3214868480
	.type	__hip_cuid_de0744ffbccf109e,@object ; @__hip_cuid_de0744ffbccf109e
	.section	.bss,"aw",@nobits
	.globl	__hip_cuid_de0744ffbccf109e
__hip_cuid_de0744ffbccf109e:
	.byte	0                               ; 0x0
	.size	__hip_cuid_de0744ffbccf109e, 1

	.ident	"AMD clang version 19.0.0git (https://github.com/RadeonOpenCompute/llvm-project roc-6.4.0 25133 c7fe45cf4b819c5991fe208aaa96edf142730f1d)"
	.section	".note.GNU-stack","",@progbits
	.addrsig
	.addrsig_sym __hip_cuid_de0744ffbccf109e
	.amdgpu_metadata
---
amdhsa.kernels:
  - .args:
      - .actual_access:  read_only
        .address_space:  global
        .offset:         0
        .size:           8
        .value_kind:     global_buffer
      - .offset:         8
        .size:           8
        .value_kind:     by_value
      - .actual_access:  read_only
        .address_space:  global
        .offset:         16
        .size:           8
        .value_kind:     global_buffer
      - .actual_access:  read_only
        .address_space:  global
        .offset:         24
        .size:           8
        .value_kind:     global_buffer
      - .offset:         32
        .size:           8
        .value_kind:     by_value
      - .actual_access:  read_only
        .address_space:  global
        .offset:         40
        .size:           8
        .value_kind:     global_buffer
      - .actual_access:  read_only
        .address_space:  global
        .offset:         48
        .size:           8
        .value_kind:     global_buffer
      - .offset:         56
        .size:           4
        .value_kind:     by_value
      - .actual_access:  read_only
        .address_space:  global
        .offset:         64
        .size:           8
        .value_kind:     global_buffer
      - .actual_access:  read_only
        .address_space:  global
        .offset:         72
        .size:           8
        .value_kind:     global_buffer
      - .address_space:  global
        .offset:         80
        .size:           8
        .value_kind:     global_buffer
    .group_segment_fixed_size: 0
    .kernarg_segment_align: 8
    .kernarg_segment_size: 88
    .language:       OpenCL C
    .language_version:
      - 2
      - 0
    .max_flat_workgroup_size: 120
    .name:           fft_rtc_back_len144_factors_6_6_4_wgs_120_tpt_12_halfLds_half_ip_CI_unitstride_sbrr_R2C_dirReg
    .private_segment_fixed_size: 0
    .sgpr_count:     34
    .sgpr_spill_count: 0
    .symbol:         fft_rtc_back_len144_factors_6_6_4_wgs_120_tpt_12_halfLds_half_ip_CI_unitstride_sbrr_R2C_dirReg.kd
    .uniform_work_group_size: 1
    .uses_dynamic_stack: false
    .vgpr_count:     73
    .vgpr_spill_count: 0
    .wavefront_size: 32
    .workgroup_processor_mode: 1
amdhsa.target:   amdgcn-amd-amdhsa--gfx1201
amdhsa.version:
  - 1
  - 2
...

	.end_amdgpu_metadata
